;; amdgpu-corpus repo=ROCm/rocFFT kind=compiled arch=gfx1100 opt=O3
	.text
	.amdgcn_target "amdgcn-amd-amdhsa--gfx1100"
	.amdhsa_code_object_version 6
	.protected	fft_rtc_back_len600_factors_10_6_10_wgs_60_tpt_60_halfLds_dp_op_CI_CI_unitstride_sbrr_C2R_dirReg ; -- Begin function fft_rtc_back_len600_factors_10_6_10_wgs_60_tpt_60_halfLds_dp_op_CI_CI_unitstride_sbrr_C2R_dirReg
	.globl	fft_rtc_back_len600_factors_10_6_10_wgs_60_tpt_60_halfLds_dp_op_CI_CI_unitstride_sbrr_C2R_dirReg
	.p2align	8
	.type	fft_rtc_back_len600_factors_10_6_10_wgs_60_tpt_60_halfLds_dp_op_CI_CI_unitstride_sbrr_C2R_dirReg,@function
fft_rtc_back_len600_factors_10_6_10_wgs_60_tpt_60_halfLds_dp_op_CI_CI_unitstride_sbrr_C2R_dirReg: ; @fft_rtc_back_len600_factors_10_6_10_wgs_60_tpt_60_halfLds_dp_op_CI_CI_unitstride_sbrr_C2R_dirReg
; %bb.0:
	s_clause 0x2
	s_load_b128 s[8:11], s[0:1], 0x0
	s_load_b128 s[4:7], s[0:1], 0x58
	;; [unrolled: 1-line block ×3, first 2 shown]
	v_mul_u32_u24_e32 v1, 0x445, v0
	v_mov_b32_e32 v3, 0
	s_delay_alu instid0(VALU_DEP_2) | instskip(NEXT) | instid1(VALU_DEP_1)
	v_lshrrev_b32_e32 v1, 16, v1
	v_add_nc_u32_e32 v5, s15, v1
	v_mov_b32_e32 v1, 0
	v_mov_b32_e32 v2, 0
	;; [unrolled: 1-line block ×3, first 2 shown]
	s_waitcnt lgkmcnt(0)
	v_cmp_lt_u64_e64 s2, s[10:11], 2
	s_delay_alu instid0(VALU_DEP_1)
	s_and_b32 vcc_lo, exec_lo, s2
	s_cbranch_vccnz .LBB0_8
; %bb.1:
	s_load_b64 s[2:3], s[0:1], 0x10
	v_mov_b32_e32 v1, 0
	v_mov_b32_e32 v2, 0
	s_add_u32 s12, s18, 8
	s_addc_u32 s13, s19, 0
	s_add_u32 s14, s16, 8
	s_addc_u32 s15, s17, 0
	v_dual_mov_b32 v49, v2 :: v_dual_mov_b32 v48, v1
	s_mov_b64 s[22:23], 1
	s_waitcnt lgkmcnt(0)
	s_add_u32 s20, s2, 8
	s_addc_u32 s21, s3, 0
.LBB0_2:                                ; =>This Inner Loop Header: Depth=1
	s_load_b64 s[24:25], s[20:21], 0x0
                                        ; implicit-def: $vgpr50_vgpr51
	s_mov_b32 s2, exec_lo
	s_waitcnt lgkmcnt(0)
	v_or_b32_e32 v4, s25, v6
	s_delay_alu instid0(VALU_DEP_1)
	v_cmpx_ne_u64_e32 0, v[3:4]
	s_xor_b32 s3, exec_lo, s2
	s_cbranch_execz .LBB0_4
; %bb.3:                                ;   in Loop: Header=BB0_2 Depth=1
	v_cvt_f32_u32_e32 v4, s24
	v_cvt_f32_u32_e32 v7, s25
	s_sub_u32 s2, 0, s24
	s_subb_u32 s26, 0, s25
	s_delay_alu instid0(VALU_DEP_1) | instskip(NEXT) | instid1(VALU_DEP_1)
	v_fmac_f32_e32 v4, 0x4f800000, v7
	v_rcp_f32_e32 v4, v4
	s_waitcnt_depctr 0xfff
	v_mul_f32_e32 v4, 0x5f7ffffc, v4
	s_delay_alu instid0(VALU_DEP_1) | instskip(NEXT) | instid1(VALU_DEP_1)
	v_mul_f32_e32 v7, 0x2f800000, v4
	v_trunc_f32_e32 v7, v7
	s_delay_alu instid0(VALU_DEP_1) | instskip(SKIP_1) | instid1(VALU_DEP_2)
	v_fmac_f32_e32 v4, 0xcf800000, v7
	v_cvt_u32_f32_e32 v7, v7
	v_cvt_u32_f32_e32 v4, v4
	s_delay_alu instid0(VALU_DEP_2) | instskip(NEXT) | instid1(VALU_DEP_2)
	v_mul_lo_u32 v8, s2, v7
	v_mul_hi_u32 v9, s2, v4
	v_mul_lo_u32 v10, s26, v4
	s_delay_alu instid0(VALU_DEP_2) | instskip(SKIP_1) | instid1(VALU_DEP_2)
	v_add_nc_u32_e32 v8, v9, v8
	v_mul_lo_u32 v9, s2, v4
	v_add_nc_u32_e32 v8, v8, v10
	s_delay_alu instid0(VALU_DEP_2) | instskip(NEXT) | instid1(VALU_DEP_2)
	v_mul_hi_u32 v10, v4, v9
	v_mul_lo_u32 v11, v4, v8
	v_mul_hi_u32 v12, v4, v8
	v_mul_hi_u32 v13, v7, v9
	v_mul_lo_u32 v9, v7, v9
	v_mul_hi_u32 v14, v7, v8
	v_mul_lo_u32 v8, v7, v8
	v_add_co_u32 v10, vcc_lo, v10, v11
	v_add_co_ci_u32_e32 v11, vcc_lo, 0, v12, vcc_lo
	s_delay_alu instid0(VALU_DEP_2) | instskip(NEXT) | instid1(VALU_DEP_2)
	v_add_co_u32 v9, vcc_lo, v10, v9
	v_add_co_ci_u32_e32 v9, vcc_lo, v11, v13, vcc_lo
	v_add_co_ci_u32_e32 v10, vcc_lo, 0, v14, vcc_lo
	s_delay_alu instid0(VALU_DEP_2) | instskip(NEXT) | instid1(VALU_DEP_2)
	v_add_co_u32 v8, vcc_lo, v9, v8
	v_add_co_ci_u32_e32 v9, vcc_lo, 0, v10, vcc_lo
	s_delay_alu instid0(VALU_DEP_2) | instskip(NEXT) | instid1(VALU_DEP_2)
	v_add_co_u32 v4, vcc_lo, v4, v8
	v_add_co_ci_u32_e32 v7, vcc_lo, v7, v9, vcc_lo
	s_delay_alu instid0(VALU_DEP_2) | instskip(SKIP_1) | instid1(VALU_DEP_3)
	v_mul_hi_u32 v8, s2, v4
	v_mul_lo_u32 v10, s26, v4
	v_mul_lo_u32 v9, s2, v7
	s_delay_alu instid0(VALU_DEP_1) | instskip(SKIP_1) | instid1(VALU_DEP_2)
	v_add_nc_u32_e32 v8, v8, v9
	v_mul_lo_u32 v9, s2, v4
	v_add_nc_u32_e32 v8, v8, v10
	s_delay_alu instid0(VALU_DEP_2) | instskip(NEXT) | instid1(VALU_DEP_2)
	v_mul_hi_u32 v10, v4, v9
	v_mul_lo_u32 v11, v4, v8
	v_mul_hi_u32 v12, v4, v8
	v_mul_hi_u32 v13, v7, v9
	v_mul_lo_u32 v9, v7, v9
	v_mul_hi_u32 v14, v7, v8
	v_mul_lo_u32 v8, v7, v8
	v_add_co_u32 v10, vcc_lo, v10, v11
	v_add_co_ci_u32_e32 v11, vcc_lo, 0, v12, vcc_lo
	s_delay_alu instid0(VALU_DEP_2) | instskip(NEXT) | instid1(VALU_DEP_2)
	v_add_co_u32 v9, vcc_lo, v10, v9
	v_add_co_ci_u32_e32 v9, vcc_lo, v11, v13, vcc_lo
	v_add_co_ci_u32_e32 v10, vcc_lo, 0, v14, vcc_lo
	s_delay_alu instid0(VALU_DEP_2) | instskip(NEXT) | instid1(VALU_DEP_2)
	v_add_co_u32 v8, vcc_lo, v9, v8
	v_add_co_ci_u32_e32 v9, vcc_lo, 0, v10, vcc_lo
	s_delay_alu instid0(VALU_DEP_2) | instskip(NEXT) | instid1(VALU_DEP_2)
	v_add_co_u32 v4, vcc_lo, v4, v8
	v_add_co_ci_u32_e32 v13, vcc_lo, v7, v9, vcc_lo
	s_delay_alu instid0(VALU_DEP_2) | instskip(SKIP_1) | instid1(VALU_DEP_3)
	v_mul_hi_u32 v14, v5, v4
	v_mad_u64_u32 v[9:10], null, v6, v4, 0
	v_mad_u64_u32 v[7:8], null, v5, v13, 0
	;; [unrolled: 1-line block ×3, first 2 shown]
	s_delay_alu instid0(VALU_DEP_2) | instskip(NEXT) | instid1(VALU_DEP_3)
	v_add_co_u32 v4, vcc_lo, v14, v7
	v_add_co_ci_u32_e32 v7, vcc_lo, 0, v8, vcc_lo
	s_delay_alu instid0(VALU_DEP_2) | instskip(NEXT) | instid1(VALU_DEP_2)
	v_add_co_u32 v4, vcc_lo, v4, v9
	v_add_co_ci_u32_e32 v4, vcc_lo, v7, v10, vcc_lo
	v_add_co_ci_u32_e32 v7, vcc_lo, 0, v12, vcc_lo
	s_delay_alu instid0(VALU_DEP_2) | instskip(NEXT) | instid1(VALU_DEP_2)
	v_add_co_u32 v4, vcc_lo, v4, v11
	v_add_co_ci_u32_e32 v9, vcc_lo, 0, v7, vcc_lo
	s_delay_alu instid0(VALU_DEP_2) | instskip(SKIP_1) | instid1(VALU_DEP_3)
	v_mul_lo_u32 v10, s25, v4
	v_mad_u64_u32 v[7:8], null, s24, v4, 0
	v_mul_lo_u32 v11, s24, v9
	s_delay_alu instid0(VALU_DEP_2) | instskip(NEXT) | instid1(VALU_DEP_2)
	v_sub_co_u32 v7, vcc_lo, v5, v7
	v_add3_u32 v8, v8, v11, v10
	s_delay_alu instid0(VALU_DEP_1) | instskip(NEXT) | instid1(VALU_DEP_1)
	v_sub_nc_u32_e32 v10, v6, v8
	v_subrev_co_ci_u32_e64 v10, s2, s25, v10, vcc_lo
	v_add_co_u32 v11, s2, v4, 2
	s_delay_alu instid0(VALU_DEP_1) | instskip(SKIP_3) | instid1(VALU_DEP_3)
	v_add_co_ci_u32_e64 v12, s2, 0, v9, s2
	v_sub_co_u32 v13, s2, v7, s24
	v_sub_co_ci_u32_e32 v8, vcc_lo, v6, v8, vcc_lo
	v_subrev_co_ci_u32_e64 v10, s2, 0, v10, s2
	v_cmp_le_u32_e32 vcc_lo, s24, v13
	s_delay_alu instid0(VALU_DEP_3) | instskip(SKIP_1) | instid1(VALU_DEP_4)
	v_cmp_eq_u32_e64 s2, s25, v8
	v_cndmask_b32_e64 v13, 0, -1, vcc_lo
	v_cmp_le_u32_e32 vcc_lo, s25, v10
	v_cndmask_b32_e64 v14, 0, -1, vcc_lo
	v_cmp_le_u32_e32 vcc_lo, s24, v7
	;; [unrolled: 2-line block ×3, first 2 shown]
	v_cndmask_b32_e64 v15, 0, -1, vcc_lo
	v_cmp_eq_u32_e32 vcc_lo, s25, v10
	s_delay_alu instid0(VALU_DEP_2) | instskip(SKIP_3) | instid1(VALU_DEP_3)
	v_cndmask_b32_e64 v7, v15, v7, s2
	v_cndmask_b32_e32 v10, v14, v13, vcc_lo
	v_add_co_u32 v13, vcc_lo, v4, 1
	v_add_co_ci_u32_e32 v14, vcc_lo, 0, v9, vcc_lo
	v_cmp_ne_u32_e32 vcc_lo, 0, v10
	s_delay_alu instid0(VALU_DEP_2) | instskip(NEXT) | instid1(VALU_DEP_4)
	v_cndmask_b32_e32 v8, v14, v12, vcc_lo
	v_cndmask_b32_e32 v10, v13, v11, vcc_lo
	v_cmp_ne_u32_e32 vcc_lo, 0, v7
	s_delay_alu instid0(VALU_DEP_2)
	v_dual_cndmask_b32 v51, v9, v8 :: v_dual_cndmask_b32 v50, v4, v10
.LBB0_4:                                ;   in Loop: Header=BB0_2 Depth=1
	s_and_not1_saveexec_b32 s2, s3
	s_cbranch_execz .LBB0_6
; %bb.5:                                ;   in Loop: Header=BB0_2 Depth=1
	v_cvt_f32_u32_e32 v4, s24
	s_sub_i32 s3, 0, s24
	v_mov_b32_e32 v51, v3
	s_delay_alu instid0(VALU_DEP_2) | instskip(SKIP_2) | instid1(VALU_DEP_1)
	v_rcp_iflag_f32_e32 v4, v4
	s_waitcnt_depctr 0xfff
	v_mul_f32_e32 v4, 0x4f7ffffe, v4
	v_cvt_u32_f32_e32 v4, v4
	s_delay_alu instid0(VALU_DEP_1) | instskip(NEXT) | instid1(VALU_DEP_1)
	v_mul_lo_u32 v7, s3, v4
	v_mul_hi_u32 v7, v4, v7
	s_delay_alu instid0(VALU_DEP_1) | instskip(NEXT) | instid1(VALU_DEP_1)
	v_add_nc_u32_e32 v4, v4, v7
	v_mul_hi_u32 v4, v5, v4
	s_delay_alu instid0(VALU_DEP_1) | instskip(SKIP_1) | instid1(VALU_DEP_2)
	v_mul_lo_u32 v7, v4, s24
	v_add_nc_u32_e32 v8, 1, v4
	v_sub_nc_u32_e32 v7, v5, v7
	s_delay_alu instid0(VALU_DEP_1) | instskip(SKIP_1) | instid1(VALU_DEP_2)
	v_subrev_nc_u32_e32 v9, s24, v7
	v_cmp_le_u32_e32 vcc_lo, s24, v7
	v_dual_cndmask_b32 v7, v7, v9 :: v_dual_cndmask_b32 v4, v4, v8
	s_delay_alu instid0(VALU_DEP_1) | instskip(NEXT) | instid1(VALU_DEP_2)
	v_cmp_le_u32_e32 vcc_lo, s24, v7
	v_add_nc_u32_e32 v8, 1, v4
	s_delay_alu instid0(VALU_DEP_1)
	v_cndmask_b32_e32 v50, v4, v8, vcc_lo
.LBB0_6:                                ;   in Loop: Header=BB0_2 Depth=1
	s_or_b32 exec_lo, exec_lo, s2
	s_delay_alu instid0(VALU_DEP_1) | instskip(NEXT) | instid1(VALU_DEP_2)
	v_mul_lo_u32 v4, v51, s24
	v_mul_lo_u32 v9, v50, s25
	s_load_b64 s[2:3], s[14:15], 0x0
	v_mad_u64_u32 v[7:8], null, v50, s24, 0
	s_load_b64 s[24:25], s[12:13], 0x0
	s_add_u32 s22, s22, 1
	s_addc_u32 s23, s23, 0
	s_add_u32 s12, s12, 8
	s_addc_u32 s13, s13, 0
	s_add_u32 s14, s14, 8
	s_delay_alu instid0(VALU_DEP_1) | instskip(SKIP_3) | instid1(VALU_DEP_2)
	v_add3_u32 v4, v8, v9, v4
	v_sub_co_u32 v8, vcc_lo, v5, v7
	s_addc_u32 s15, s15, 0
	s_add_u32 s20, s20, 8
	v_sub_co_ci_u32_e32 v6, vcc_lo, v6, v4, vcc_lo
	s_addc_u32 s21, s21, 0
	s_waitcnt lgkmcnt(0)
	s_delay_alu instid0(VALU_DEP_1)
	v_mul_lo_u32 v9, s2, v6
	v_mul_lo_u32 v10, s3, v8
	v_mad_u64_u32 v[4:5], null, s2, v8, v[1:2]
	v_mul_lo_u32 v11, s24, v6
	v_mul_lo_u32 v12, s25, v8
	v_mad_u64_u32 v[6:7], null, s24, v8, v[48:49]
	v_cmp_ge_u64_e64 s2, s[22:23], s[10:11]
	v_add3_u32 v2, v10, v5, v9
	s_delay_alu instid0(VALU_DEP_3) | instskip(NEXT) | instid1(VALU_DEP_4)
	v_dual_mov_b32 v1, v4 :: v_dual_mov_b32 v48, v6
	v_add3_u32 v49, v12, v7, v11
	s_delay_alu instid0(VALU_DEP_4)
	s_and_b32 vcc_lo, exec_lo, s2
	s_cbranch_vccnz .LBB0_9
; %bb.7:                                ;   in Loop: Header=BB0_2 Depth=1
	v_dual_mov_b32 v5, v50 :: v_dual_mov_b32 v6, v51
	s_branch .LBB0_2
.LBB0_8:
	v_dual_mov_b32 v49, v2 :: v_dual_mov_b32 v48, v1
	v_dual_mov_b32 v51, v6 :: v_dual_mov_b32 v50, v5
.LBB0_9:
	s_load_b64 s[0:1], s[0:1], 0x28
	v_mul_hi_u32 v3, 0x4444445, v0
	s_lshl_b64 s[10:11], s[10:11], 3
                                        ; implicit-def: $vgpr52
	s_delay_alu instid0(SALU_CYCLE_1) | instskip(SKIP_4) | instid1(VALU_DEP_1)
	s_add_u32 s2, s18, s10
	s_addc_u32 s3, s19, s11
	s_waitcnt lgkmcnt(0)
	v_cmp_gt_u64_e32 vcc_lo, s[0:1], v[50:51]
	v_cmp_le_u64_e64 s0, s[0:1], v[50:51]
	s_and_saveexec_b32 s1, s0
	s_delay_alu instid0(SALU_CYCLE_1)
	s_xor_b32 s0, exec_lo, s1
; %bb.10:
	v_mul_u32_u24_e32 v1, 60, v3
                                        ; implicit-def: $vgpr3
	s_delay_alu instid0(VALU_DEP_1)
	v_sub_nc_u32_e32 v52, v0, v1
                                        ; implicit-def: $vgpr0
                                        ; implicit-def: $vgpr1_vgpr2
; %bb.11:
	s_or_saveexec_b32 s1, s0
	s_load_b64 s[2:3], s[2:3], 0x0
	s_xor_b32 exec_lo, exec_lo, s1
	s_cbranch_execz .LBB0_15
; %bb.12:
	s_add_u32 s10, s16, s10
	s_addc_u32 s11, s17, s11
	v_lshlrev_b64 v[1:2], 4, v[1:2]
	s_load_b64 s[10:11], s[10:11], 0x0
	s_waitcnt lgkmcnt(0)
	v_mul_lo_u32 v6, s11, v50
	v_mul_lo_u32 v7, s10, v51
	v_mad_u64_u32 v[4:5], null, s10, v50, 0
	s_delay_alu instid0(VALU_DEP_1) | instskip(SKIP_1) | instid1(VALU_DEP_2)
	v_add3_u32 v5, v5, v7, v6
	v_mul_u32_u24_e32 v6, 60, v3
	v_lshlrev_b64 v[3:4], 4, v[4:5]
	s_delay_alu instid0(VALU_DEP_2) | instskip(NEXT) | instid1(VALU_DEP_1)
	v_sub_nc_u32_e32 v52, v0, v6
	v_lshlrev_b32_e32 v42, 4, v52
	s_delay_alu instid0(VALU_DEP_3) | instskip(NEXT) | instid1(VALU_DEP_1)
	v_add_co_u32 v0, s0, s4, v3
	v_add_co_ci_u32_e64 v3, s0, s5, v4, s0
	s_mov_b32 s4, exec_lo
	s_delay_alu instid0(VALU_DEP_2) | instskip(NEXT) | instid1(VALU_DEP_1)
	v_add_co_u32 v0, s0, v0, v1
	v_add_co_ci_u32_e64 v1, s0, v3, v2, s0
	s_delay_alu instid0(VALU_DEP_2) | instskip(NEXT) | instid1(VALU_DEP_1)
	v_add_co_u32 v18, s0, v0, v42
	v_add_co_ci_u32_e64 v19, s0, 0, v1, s0
	s_clause 0x3
	global_load_b128 v[2:5], v[18:19], off
	global_load_b128 v[6:9], v[18:19], off offset:960
	global_load_b128 v[10:13], v[18:19], off offset:1920
	;; [unrolled: 1-line block ×3, first 2 shown]
	v_add_co_u32 v34, s0, 0x1000, v18
	s_delay_alu instid0(VALU_DEP_1) | instskip(SKIP_1) | instid1(VALU_DEP_1)
	v_add_co_ci_u32_e64 v35, s0, 0, v19, s0
	v_add_co_u32 v38, s0, 0x2000, v18
	v_add_co_ci_u32_e64 v39, s0, 0, v19, s0
	s_clause 0x5
	global_load_b128 v[18:21], v[18:19], off offset:3840
	global_load_b128 v[22:25], v[34:35], off offset:704
	;; [unrolled: 1-line block ×6, first 2 shown]
	v_add_nc_u32_e32 v42, 0, v42
	s_waitcnt vmcnt(9)
	ds_store_b128 v42, v[2:5]
	s_waitcnt vmcnt(8)
	ds_store_b128 v42, v[6:9] offset:960
	s_waitcnt vmcnt(7)
	ds_store_b128 v42, v[10:13] offset:1920
	;; [unrolled: 2-line block ×9, first 2 shown]
	v_cmpx_eq_u32_e32 59, v52
	s_cbranch_execz .LBB0_14
; %bb.13:
	v_add_co_u32 v0, s0, 0x2000, v0
	s_delay_alu instid0(VALU_DEP_1)
	v_add_co_ci_u32_e64 v1, s0, 0, v1, s0
	v_mov_b32_e32 v4, 0
	v_mov_b32_e32 v52, 59
	global_load_b128 v[0:3], v[0:1], off offset:1408
	s_waitcnt vmcnt(0)
	ds_store_b128 v4, v[0:3] offset:9600
.LBB0_14:
	s_or_b32 exec_lo, exec_lo, s4
.LBB0_15:
	s_delay_alu instid0(SALU_CYCLE_1)
	s_or_b32 exec_lo, exec_lo, s1
	v_lshlrev_b32_e32 v0, 4, v52
	s_waitcnt lgkmcnt(0)
	s_barrier
	buffer_gl0_inv
	s_add_u32 s1, s8, 0x24e0
	v_add_nc_u32_e32 v54, 0, v0
	v_sub_nc_u32_e32 v10, 0, v0
	s_addc_u32 s4, s9, 0
	s_mov_b32 s5, exec_lo
                                        ; implicit-def: $vgpr4_vgpr5
	ds_load_b64 v[6:7], v54
	ds_load_b64 v[8:9], v10 offset:9600
	s_waitcnt lgkmcnt(0)
	v_add_f64 v[0:1], v[6:7], v[8:9]
	v_add_f64 v[2:3], v[6:7], -v[8:9]
	v_cmpx_ne_u32_e32 0, v52
	s_xor_b32 s5, exec_lo, s5
	s_cbranch_execz .LBB0_17
; %bb.16:
	v_mov_b32_e32 v53, 0
	v_add_f64 v[13:14], v[6:7], v[8:9]
	v_add_f64 v[15:16], v[6:7], -v[8:9]
	s_delay_alu instid0(VALU_DEP_3) | instskip(NEXT) | instid1(VALU_DEP_1)
	v_lshlrev_b64 v[0:1], 4, v[52:53]
	v_add_co_u32 v0, s0, s1, v0
	s_delay_alu instid0(VALU_DEP_1)
	v_add_co_ci_u32_e64 v1, s0, s4, v1, s0
	global_load_b128 v[2:5], v[0:1], off
	ds_load_b64 v[0:1], v10 offset:9608
	ds_load_b64 v[11:12], v54 offset:8
	s_waitcnt lgkmcnt(0)
	v_add_f64 v[6:7], v[0:1], v[11:12]
	v_add_f64 v[0:1], v[11:12], -v[0:1]
	s_waitcnt vmcnt(0)
	v_fma_f64 v[8:9], v[15:16], v[4:5], v[13:14]
	v_fma_f64 v[11:12], -v[15:16], v[4:5], v[13:14]
	s_delay_alu instid0(VALU_DEP_3) | instskip(SKIP_1) | instid1(VALU_DEP_4)
	v_fma_f64 v[13:14], v[6:7], v[4:5], -v[0:1]
	v_fma_f64 v[4:5], v[6:7], v[4:5], v[0:1]
	v_fma_f64 v[0:1], -v[6:7], v[2:3], v[8:9]
	s_delay_alu instid0(VALU_DEP_4) | instskip(NEXT) | instid1(VALU_DEP_4)
	v_fma_f64 v[6:7], v[6:7], v[2:3], v[11:12]
	v_fma_f64 v[8:9], v[15:16], v[2:3], v[13:14]
	s_delay_alu instid0(VALU_DEP_4)
	v_fma_f64 v[2:3], v[15:16], v[2:3], v[4:5]
	v_dual_mov_b32 v4, v52 :: v_dual_mov_b32 v5, v53
	ds_store_b128 v10, v[6:9] offset:9600
.LBB0_17:
	s_and_not1_saveexec_b32 s0, s5
	s_cbranch_execz .LBB0_19
; %bb.18:
	v_mov_b32_e32 v8, 0
	ds_load_b128 v[4:7], v8 offset:4800
	s_waitcnt lgkmcnt(0)
	v_add_f64 v[11:12], v[4:5], v[4:5]
	v_mul_f64 v[13:14], v[6:7], -2.0
	v_mov_b32_e32 v4, 0
	v_mov_b32_e32 v5, 0
	ds_store_b128 v8, v[11:14] offset:4800
.LBB0_19:
	s_or_b32 exec_lo, exec_lo, s0
	v_lshlrev_b64 v[4:5], 4, v[4:5]
	s_mov_b32 s10, 0x134454ff
	s_mov_b32 s11, 0xbfee6f0e
	;; [unrolled: 1-line block ×5, first 2 shown]
	v_add_co_u32 v23, s0, s1, v4
	s_delay_alu instid0(VALU_DEP_1)
	v_add_co_ci_u32_e64 v24, s0, s4, v5, s0
	s_mov_b32 s1, 0x3fee6f0e
	s_mov_b32 s0, s10
	;; [unrolled: 1-line block ×3, first 2 shown]
	s_clause 0x1
	global_load_b128 v[4:7], v[23:24], off offset:960
	global_load_b128 v[11:14], v[23:24], off offset:1920
	ds_store_b128 v54, v[0:3]
	ds_load_b128 v[0:3], v54 offset:960
	ds_load_b128 v[15:18], v10 offset:8640
	global_load_b128 v[19:22], v[23:24], off offset:2880
	s_mov_b32 s14, 0x372fe950
	s_mov_b32 s15, 0x3fd3c6ef
	;; [unrolled: 1-line block ×8, first 2 shown]
	s_waitcnt lgkmcnt(0)
	v_add_f64 v[8:9], v[0:1], v[15:16]
	v_add_f64 v[25:26], v[17:18], v[2:3]
	v_add_f64 v[15:16], v[0:1], -v[15:16]
	v_add_f64 v[0:1], v[2:3], -v[17:18]
	s_waitcnt vmcnt(2)
	s_delay_alu instid0(VALU_DEP_2) | instskip(NEXT) | instid1(VALU_DEP_2)
	v_fma_f64 v[2:3], v[15:16], v[6:7], v[8:9]
	v_fma_f64 v[17:18], v[25:26], v[6:7], v[0:1]
	v_fma_f64 v[8:9], -v[15:16], v[6:7], v[8:9]
	v_fma_f64 v[27:28], v[25:26], v[6:7], -v[0:1]
	s_delay_alu instid0(VALU_DEP_4) | instskip(NEXT) | instid1(VALU_DEP_4)
	v_fma_f64 v[0:1], -v[25:26], v[4:5], v[2:3]
	v_fma_f64 v[2:3], v[15:16], v[4:5], v[17:18]
	s_delay_alu instid0(VALU_DEP_4) | instskip(NEXT) | instid1(VALU_DEP_4)
	v_fma_f64 v[6:7], v[25:26], v[4:5], v[8:9]
	v_fma_f64 v[8:9], v[15:16], v[4:5], v[27:28]
	ds_store_b128 v54, v[0:3] offset:960
	ds_store_b128 v10, v[6:9] offset:8640
	ds_load_b128 v[0:3], v54 offset:1920
	ds_load_b128 v[4:7], v10 offset:7680
	global_load_b128 v[15:18], v[23:24], off offset:3840
	s_waitcnt lgkmcnt(0)
	v_add_f64 v[8:9], v[0:1], v[4:5]
	v_add_f64 v[23:24], v[6:7], v[2:3]
	v_add_f64 v[25:26], v[0:1], -v[4:5]
	v_add_f64 v[0:1], v[2:3], -v[6:7]
	s_waitcnt vmcnt(2)
	s_delay_alu instid0(VALU_DEP_2) | instskip(NEXT) | instid1(VALU_DEP_2)
	v_fma_f64 v[2:3], v[25:26], v[13:14], v[8:9]
	v_fma_f64 v[4:5], v[23:24], v[13:14], v[0:1]
	v_fma_f64 v[6:7], -v[25:26], v[13:14], v[8:9]
	v_fma_f64 v[8:9], v[23:24], v[13:14], -v[0:1]
	s_delay_alu instid0(VALU_DEP_4) | instskip(NEXT) | instid1(VALU_DEP_4)
	v_fma_f64 v[0:1], -v[23:24], v[11:12], v[2:3]
	v_fma_f64 v[2:3], v[25:26], v[11:12], v[4:5]
	s_delay_alu instid0(VALU_DEP_4) | instskip(NEXT) | instid1(VALU_DEP_4)
	v_fma_f64 v[4:5], v[23:24], v[11:12], v[6:7]
	v_fma_f64 v[6:7], v[25:26], v[11:12], v[8:9]
	ds_store_b128 v54, v[0:3] offset:1920
	ds_store_b128 v10, v[4:7] offset:7680
	ds_load_b128 v[0:3], v54 offset:2880
	ds_load_b128 v[4:7], v10 offset:6720
	s_waitcnt lgkmcnt(0)
	v_add_f64 v[8:9], v[0:1], v[4:5]
	v_add_f64 v[11:12], v[6:7], v[2:3]
	v_add_f64 v[13:14], v[0:1], -v[4:5]
	v_add_f64 v[0:1], v[2:3], -v[6:7]
	s_waitcnt vmcnt(1)
	s_delay_alu instid0(VALU_DEP_2) | instskip(NEXT) | instid1(VALU_DEP_2)
	v_fma_f64 v[2:3], v[13:14], v[21:22], v[8:9]
	v_fma_f64 v[4:5], v[11:12], v[21:22], v[0:1]
	v_fma_f64 v[6:7], -v[13:14], v[21:22], v[8:9]
	v_fma_f64 v[8:9], v[11:12], v[21:22], -v[0:1]
	s_delay_alu instid0(VALU_DEP_4) | instskip(NEXT) | instid1(VALU_DEP_4)
	v_fma_f64 v[0:1], -v[11:12], v[19:20], v[2:3]
	v_fma_f64 v[2:3], v[13:14], v[19:20], v[4:5]
	s_delay_alu instid0(VALU_DEP_4) | instskip(NEXT) | instid1(VALU_DEP_4)
	v_fma_f64 v[4:5], v[11:12], v[19:20], v[6:7]
	v_fma_f64 v[6:7], v[13:14], v[19:20], v[8:9]
	ds_store_b128 v54, v[0:3] offset:2880
	ds_store_b128 v10, v[4:7] offset:6720
	ds_load_b128 v[0:3], v54 offset:3840
	ds_load_b128 v[4:7], v10 offset:5760
	s_waitcnt lgkmcnt(0)
	v_add_f64 v[8:9], v[0:1], v[4:5]
	v_add_f64 v[11:12], v[6:7], v[2:3]
	v_add_f64 v[13:14], v[0:1], -v[4:5]
	v_add_f64 v[0:1], v[2:3], -v[6:7]
	s_waitcnt vmcnt(0)
	s_delay_alu instid0(VALU_DEP_2) | instskip(NEXT) | instid1(VALU_DEP_2)
	v_fma_f64 v[2:3], v[13:14], v[17:18], v[8:9]
	v_fma_f64 v[4:5], v[11:12], v[17:18], v[0:1]
	v_fma_f64 v[6:7], -v[13:14], v[17:18], v[8:9]
	v_fma_f64 v[8:9], v[11:12], v[17:18], -v[0:1]
	s_delay_alu instid0(VALU_DEP_4) | instskip(NEXT) | instid1(VALU_DEP_4)
	v_fma_f64 v[0:1], -v[11:12], v[15:16], v[2:3]
	v_fma_f64 v[2:3], v[13:14], v[15:16], v[4:5]
	s_delay_alu instid0(VALU_DEP_4) | instskip(NEXT) | instid1(VALU_DEP_4)
	v_fma_f64 v[4:5], v[11:12], v[15:16], v[6:7]
	v_fma_f64 v[6:7], v[13:14], v[15:16], v[8:9]
	ds_store_b128 v54, v[0:3] offset:3840
	ds_store_b128 v10, v[4:7] offset:5760
	s_waitcnt lgkmcnt(0)
	s_barrier
	buffer_gl0_inv
	s_barrier
	buffer_gl0_inv
	ds_load_b128 v[0:3], v54 offset:2880
	ds_load_b128 v[4:7], v54 offset:4800
	;; [unrolled: 1-line block ×8, first 2 shown]
	s_waitcnt lgkmcnt(6)
	v_add_f64 v[69:70], v[0:1], -v[4:5]
	s_waitcnt lgkmcnt(5)
	v_add_f64 v[32:33], v[6:7], v[10:11]
	s_waitcnt lgkmcnt(4)
	v_add_f64 v[34:35], v[2:3], v[14:15]
	v_add_f64 v[36:37], v[4:5], v[8:9]
	;; [unrolled: 1-line block ×3, first 2 shown]
	v_add_f64 v[42:43], v[0:1], -v[12:13]
	v_add_f64 v[44:45], v[4:5], -v[8:9]
	;; [unrolled: 1-line block ×3, first 2 shown]
	s_waitcnt lgkmcnt(0)
	v_add_f64 v[61:62], v[24:25], v[28:29]
	v_add_f64 v[65:66], v[26:27], v[30:31]
	v_add_f64 v[71:72], v[12:13], -v[8:9]
	v_add_f64 v[73:74], v[6:7], -v[10:11]
	;; [unrolled: 1-line block ×6, first 2 shown]
	v_add_f64 v[2:3], v[18:19], v[2:3]
	v_add_f64 v[93:94], v[8:9], -v[12:13]
	v_fma_f64 v[46:47], v[32:33], -0.5, v[18:19]
	v_fma_f64 v[55:56], v[34:35], -0.5, v[18:19]
	;; [unrolled: 1-line block ×3, first 2 shown]
	ds_load_b128 v[32:35], v54 offset:7680
	ds_load_b128 v[36:39], v54
	v_fma_f64 v[40:41], v[40:41], -0.5, v[16:17]
	v_add_f64 v[16:17], v[16:17], v[0:1]
	v_add_f64 v[0:1], v[4:5], -v[0:1]
	s_waitcnt lgkmcnt(0)
	v_add_f64 v[69:70], v[69:70], v[71:72]
	v_add_f64 v[71:72], v[24:25], -v[28:29]
	s_barrier
	v_add_f64 v[75:76], v[75:76], v[77:78]
	buffer_gl0_inv
	v_add_f64 v[79:80], v[79:80], v[81:82]
	v_add_f64 v[2:3], v[2:3], v[6:7]
	;; [unrolled: 1-line block ×6, first 2 shown]
	v_add_f64 v[18:19], v[22:23], -v[34:35]
	v_fma_f64 v[61:62], v[61:62], -0.5, v[36:37]
	v_fma_f64 v[83:84], v[42:43], s[0:1], v[46:47]
	v_fma_f64 v[85:86], v[44:45], s[10:11], v[55:56]
	;; [unrolled: 1-line block ×8, first 2 shown]
	v_add_f64 v[4:5], v[16:17], v[4:5]
	v_add_f64 v[0:1], v[0:1], v[93:94]
	v_add_f64 v[93:94], v[30:31], -v[34:35]
	v_add_f64 v[2:3], v[2:3], v[10:11]
	v_fma_f64 v[36:37], v[63:64], -0.5, v[36:37]
	v_fma_f64 v[63:64], v[65:66], -0.5, v[38:39]
	;; [unrolled: 1-line block ×3, first 2 shown]
	v_add_f64 v[65:66], v[26:27], -v[30:31]
	v_add_f64 v[67:68], v[20:21], -v[32:33]
	v_fma_f64 v[6:7], v[18:19], s[10:11], v[61:62]
	v_fma_f64 v[16:17], v[18:19], s[0:1], v[61:62]
	;; [unrolled: 1-line block ×7, first 2 shown]
	v_add_f64 v[55:56], v[20:21], -v[24:25]
	v_add_f64 v[20:21], v[24:25], -v[20:21]
	;; [unrolled: 1-line block ×4, first 2 shown]
	v_add_f64 v[24:25], v[89:90], v[24:25]
	v_add_f64 v[26:27], v[91:92], v[26:27]
	v_add_f64 v[87:88], v[32:33], -v[28:29]
	v_add_f64 v[91:92], v[34:35], -v[30:31]
	v_fma_f64 v[59:60], v[73:74], s[4:5], v[59:60]
	v_fma_f64 v[77:78], v[57:58], s[12:13], v[77:78]
	;; [unrolled: 1-line block ×3, first 2 shown]
	v_add_f64 v[89:90], v[28:29], -v[32:33]
	v_add_f64 v[4:5], v[4:5], v[8:9]
	v_add_f64 v[2:3], v[2:3], v[14:15]
	v_fma_f64 v[57:58], v[71:72], s[10:11], v[38:39]
	v_fma_f64 v[61:62], v[65:66], s[0:1], v[36:37]
	v_fma_f64 v[36:37], v[65:66], s[10:11], v[36:37]
	v_fma_f64 v[73:74], v[67:68], s[0:1], v[63:64]
	v_fma_f64 v[63:64], v[67:68], s[10:11], v[63:64]
	v_fma_f64 v[38:39], v[71:72], s[0:1], v[38:39]
	v_fma_f64 v[6:7], v[65:66], s[12:13], v[6:7]
	v_fma_f64 v[8:9], v[65:66], s[4:5], v[16:17]
	v_fma_f64 v[81:82], v[75:76], s[14:15], v[81:82]
	v_fma_f64 v[83:84], v[79:80], s[14:15], v[83:84]
	v_fma_f64 v[42:43], v[79:80], s[14:15], v[42:43]
	v_fma_f64 v[44:45], v[75:76], s[14:15], v[44:45]
	v_fma_f64 v[46:47], v[69:70], s[14:15], v[46:47]
	v_add_f64 v[22:23], v[22:23], v[93:94]
	v_add_f64 v[24:25], v[24:25], v[28:29]
	;; [unrolled: 1-line block ×7, first 2 shown]
	v_fma_f64 v[30:31], v[67:68], s[4:5], v[57:58]
	v_fma_f64 v[10:11], v[18:19], s[12:13], v[61:62]
	;; [unrolled: 1-line block ×9, first 2 shown]
	v_mul_f64 v[40:41], v[81:82], s[12:13]
	v_mul_f64 v[59:60], v[83:84], s[10:11]
	;; [unrolled: 1-line block ×8, first 2 shown]
	v_add_f64 v[24:25], v[24:25], v[32:33]
	v_add_f64 v[26:27], v[26:27], v[34:35]
	v_fma_f64 v[6:7], v[55:56], s[14:15], v[6:7]
	v_fma_f64 v[12:13], v[55:56], s[14:15], v[8:9]
	;; [unrolled: 1-line block ×16, first 2 shown]
	v_cmp_gt_u32_e64 s0, 40, v52
	v_add_f64 v[16:17], v[24:25], v[4:5]
	v_add_f64 v[18:19], v[26:27], v[2:3]
	v_add_f64 v[20:21], v[24:25], -v[4:5]
	v_add_f64 v[22:23], v[26:27], -v[2:3]
	v_add_f64 v[24:25], v[6:7], v[40:41]
	v_add_f64 v[28:29], v[8:9], v[46:47]
	;; [unrolled: 1-line block ×8, first 2 shown]
	v_add_f64 v[0:1], v[6:7], -v[40:41]
	v_add_f64 v[2:3], v[14:15], -v[63:64]
	;; [unrolled: 1-line block ×8, first 2 shown]
	v_mad_u32_u24 v40, 0x90, v52, v54
	ds_store_b128 v40, v[16:19]
	ds_store_b128 v40, v[24:27] offset:16
	ds_store_b128 v40, v[28:31] offset:32
	;; [unrolled: 1-line block ×9, first 2 shown]
	s_waitcnt lgkmcnt(0)
	s_barrier
	buffer_gl0_inv
	ds_load_b128 v[24:27], v54
	ds_load_b128 v[28:31], v54 offset:1600
	ds_load_b128 v[32:35], v54 offset:3200
	;; [unrolled: 1-line block ×5, first 2 shown]
                                        ; implicit-def: $vgpr22_vgpr23
                                        ; implicit-def: $vgpr18_vgpr19
	s_and_saveexec_b32 s1, s0
	s_cbranch_execz .LBB0_21
; %bb.20:
	ds_load_b128 v[0:3], v54 offset:960
	ds_load_b128 v[4:7], v54 offset:2560
	;; [unrolled: 1-line block ×6, first 2 shown]
.LBB0_21:
	s_or_b32 exec_lo, exec_lo, s1
	v_and_b32_e32 v53, 0xff, v52
	s_mov_b32 s4, 0xe8584caa
	s_mov_b32 s5, 0xbfebb67a
	s_mov_b32 s11, 0x3febb67a
	s_mov_b32 s10, s4
	v_mul_lo_u16 v53, 0xcd, v53
	s_delay_alu instid0(VALU_DEP_1) | instskip(NEXT) | instid1(VALU_DEP_1)
	v_lshrrev_b16 v53, 11, v53
	v_mul_lo_u16 v55, v53, 10
	v_and_b32_e32 v53, 0xffff, v53
	s_delay_alu instid0(VALU_DEP_2) | instskip(NEXT) | instid1(VALU_DEP_2)
	v_sub_nc_u16 v55, v52, v55
	v_mul_u32_u24_e32 v53, 0x3c0, v53
	s_delay_alu instid0(VALU_DEP_2) | instskip(NEXT) | instid1(VALU_DEP_1)
	v_and_b32_e32 v81, 0xff, v55
	v_mul_u32_u24_e32 v55, 5, v81
	s_delay_alu instid0(VALU_DEP_1)
	v_lshlrev_b32_e32 v71, 4, v55
	s_clause 0x4
	global_load_b128 v[55:58], v71, s[8:9] offset:32
	global_load_b128 v[59:62], v71, s[8:9] offset:64
	global_load_b128 v[63:66], v71, s[8:9]
	global_load_b128 v[67:70], v71, s[8:9] offset:16
	global_load_b128 v[71:74], v71, s[8:9] offset:48
	s_waitcnt vmcnt(0) lgkmcnt(0)
	s_barrier
	buffer_gl0_inv
	v_mul_f64 v[75:76], v[40:41], v[57:58]
	v_mul_f64 v[77:78], v[44:45], v[61:62]
	;; [unrolled: 1-line block ×6, first 2 shown]
	v_fma_f64 v[42:43], v[42:43], v[55:56], -v[75:76]
	v_fma_f64 v[46:47], v[46:47], v[59:60], -v[77:78]
	v_mul_f64 v[75:76], v[34:35], v[69:70]
	v_mul_f64 v[69:70], v[32:33], v[69:70]
	;; [unrolled: 1-line block ×4, first 2 shown]
	v_fma_f64 v[40:41], v[40:41], v[55:56], v[57:58]
	v_fma_f64 v[44:45], v[44:45], v[59:60], v[61:62]
	v_fma_f64 v[30:31], v[30:31], v[63:64], -v[79:80]
	v_fma_f64 v[28:29], v[28:29], v[63:64], v[65:66]
	v_add_f64 v[55:56], v[42:43], v[46:47]
	v_fma_f64 v[32:33], v[32:33], v[67:68], v[75:76]
	v_fma_f64 v[34:35], v[34:35], v[67:68], -v[69:70]
	v_fma_f64 v[36:37], v[36:37], v[71:72], v[77:78]
	v_fma_f64 v[38:39], v[38:39], v[71:72], -v[73:74]
	v_add_f64 v[65:66], v[42:43], -v[46:47]
	v_add_f64 v[57:58], v[40:41], v[44:45]
	v_add_f64 v[59:60], v[40:41], -v[44:45]
	v_fma_f64 v[55:56], v[55:56], -0.5, v[30:31]
	v_add_f64 v[30:31], v[30:31], v[42:43]
	v_add_f64 v[61:62], v[32:33], v[36:37]
	;; [unrolled: 1-line block ×3, first 2 shown]
	v_add_f64 v[69:70], v[34:35], -v[38:39]
	v_fma_f64 v[57:58], v[57:58], -0.5, v[28:29]
	v_add_f64 v[34:35], v[26:27], v[34:35]
	v_add_f64 v[28:29], v[28:29], v[40:41]
	v_fma_f64 v[67:68], v[59:60], s[10:11], v[55:56]
	v_fma_f64 v[55:56], v[59:60], s[4:5], v[55:56]
	v_add_f64 v[59:60], v[24:25], v[32:33]
	v_add_f64 v[32:33], v[32:33], -v[36:37]
	v_fma_f64 v[24:25], v[61:62], -0.5, v[24:25]
	v_fma_f64 v[26:27], v[63:64], -0.5, v[26:27]
	v_fma_f64 v[40:41], v[65:66], s[4:5], v[57:58]
	v_fma_f64 v[42:43], v[65:66], s[10:11], v[57:58]
	v_add_f64 v[34:35], v[34:35], v[38:39]
	v_add_f64 v[28:29], v[28:29], v[44:45]
	;; [unrolled: 1-line block ×3, first 2 shown]
	v_mul_f64 v[57:58], v[67:68], s[4:5]
	v_mul_f64 v[63:64], v[67:68], 0.5
	v_mul_f64 v[61:62], v[55:56], s[4:5]
	v_mul_f64 v[55:56], v[55:56], -0.5
	v_add_f64 v[36:37], v[59:60], v[36:37]
	v_fma_f64 v[44:45], v[69:70], s[4:5], v[24:25]
	v_fma_f64 v[59:60], v[32:33], s[10:11], v[26:27]
	;; [unrolled: 1-line block ×4, first 2 shown]
	v_add_f64 v[26:27], v[34:35], v[30:31]
	v_add_f64 v[30:31], v[34:35], -v[30:31]
	v_fma_f64 v[57:58], v[40:41], 0.5, v[57:58]
	v_fma_f64 v[63:64], v[40:41], s[10:11], v[63:64]
	v_fma_f64 v[61:62], v[42:43], -0.5, v[61:62]
	v_fma_f64 v[55:56], v[42:43], s[10:11], v[55:56]
	v_add_f64 v[24:25], v[36:37], v[28:29]
	v_add_f64 v[28:29], v[36:37], -v[28:29]
	v_add_f64 v[32:33], v[44:45], v[57:58]
	v_add_f64 v[34:35], v[59:60], v[63:64]
	;; [unrolled: 1-line block ×4, first 2 shown]
	v_add_f64 v[40:41], v[44:45], -v[57:58]
	v_add_f64 v[42:43], v[59:60], -v[63:64]
	;; [unrolled: 1-line block ×4, first 2 shown]
	v_lshlrev_b32_e32 v55, 4, v81
	s_delay_alu instid0(VALU_DEP_1)
	v_add3_u32 v53, 0, v53, v55
	ds_store_b128 v53, v[24:27]
	ds_store_b128 v53, v[32:35] offset:160
	ds_store_b128 v53, v[36:39] offset:320
	;; [unrolled: 1-line block ×5, first 2 shown]
	s_and_saveexec_b32 s1, s0
	s_cbranch_execz .LBB0_23
; %bb.22:
	v_add_nc_u16 v24, v52, 60
	s_delay_alu instid0(VALU_DEP_1) | instskip(NEXT) | instid1(VALU_DEP_1)
	v_and_b32_e32 v25, 0xff, v24
	v_mul_lo_u16 v25, 0xcd, v25
	s_delay_alu instid0(VALU_DEP_1) | instskip(NEXT) | instid1(VALU_DEP_1)
	v_lshrrev_b16 v53, 11, v25
	v_mul_lo_u16 v25, v53, 10
	s_delay_alu instid0(VALU_DEP_1) | instskip(NEXT) | instid1(VALU_DEP_1)
	v_sub_nc_u16 v24, v24, v25
	v_and_b32_e32 v57, 0xff, v24
	s_delay_alu instid0(VALU_DEP_1) | instskip(NEXT) | instid1(VALU_DEP_1)
	v_mul_u32_u24_e32 v24, 5, v57
	v_lshlrev_b32_e32 v40, 4, v24
	s_clause 0x4
	global_load_b128 v[24:27], v40, s[8:9] offset:32
	global_load_b128 v[28:31], v40, s[8:9] offset:64
	global_load_b128 v[32:35], v40, s[8:9]
	global_load_b128 v[36:39], v40, s[8:9] offset:16
	global_load_b128 v[40:43], v40, s[8:9] offset:48
	s_waitcnt vmcnt(4)
	v_mul_f64 v[44:45], v[12:13], v[26:27]
	s_waitcnt vmcnt(3)
	v_mul_f64 v[46:47], v[20:21], v[30:31]
	v_mul_f64 v[26:27], v[14:15], v[26:27]
	;; [unrolled: 1-line block ×3, first 2 shown]
	s_waitcnt vmcnt(2)
	v_mul_f64 v[55:56], v[4:5], v[34:35]
	v_mul_f64 v[34:35], v[6:7], v[34:35]
	v_fma_f64 v[14:15], v[14:15], v[24:25], -v[44:45]
	v_fma_f64 v[22:23], v[22:23], v[28:29], -v[46:47]
	s_waitcnt vmcnt(1)
	v_mul_f64 v[44:45], v[8:9], v[38:39]
	s_waitcnt vmcnt(0)
	v_mul_f64 v[46:47], v[16:17], v[42:43]
	v_mul_f64 v[38:39], v[10:11], v[38:39]
	v_mul_f64 v[42:43], v[18:19], v[42:43]
	v_fma_f64 v[12:13], v[12:13], v[24:25], v[26:27]
	v_fma_f64 v[20:21], v[20:21], v[28:29], v[30:31]
	v_fma_f64 v[6:7], v[6:7], v[32:33], -v[55:56]
	v_fma_f64 v[4:5], v[4:5], v[32:33], v[34:35]
	v_add_f64 v[24:25], v[14:15], v[22:23]
	v_fma_f64 v[10:11], v[10:11], v[36:37], -v[44:45]
	v_fma_f64 v[18:19], v[18:19], v[40:41], -v[46:47]
	v_fma_f64 v[8:9], v[8:9], v[36:37], v[38:39]
	v_fma_f64 v[16:17], v[16:17], v[40:41], v[42:43]
	v_add_f64 v[32:33], v[14:15], -v[22:23]
	v_add_f64 v[26:27], v[12:13], v[20:21]
	v_add_f64 v[28:29], v[12:13], -v[20:21]
	v_fma_f64 v[24:25], v[24:25], -0.5, v[6:7]
	v_add_f64 v[38:39], v[2:3], v[10:11]
	v_add_f64 v[30:31], v[10:11], v[18:19]
	v_add_f64 v[6:7], v[6:7], v[14:15]
	v_add_f64 v[34:35], v[8:9], v[16:17]
	v_add_f64 v[10:11], v[10:11], -v[18:19]
	v_fma_f64 v[26:27], v[26:27], -0.5, v[4:5]
	v_add_f64 v[4:5], v[4:5], v[12:13]
	v_fma_f64 v[36:37], v[28:29], s[4:5], v[24:25]
	v_fma_f64 v[24:25], v[28:29], s[10:11], v[24:25]
	v_add_f64 v[28:29], v[8:9], -v[16:17]
	v_add_f64 v[8:9], v[0:1], v[8:9]
	v_fma_f64 v[2:3], v[30:31], -0.5, v[2:3]
	v_fma_f64 v[0:1], v[34:35], -0.5, v[0:1]
	v_fma_f64 v[12:13], v[32:33], s[10:11], v[26:27]
	v_fma_f64 v[26:27], v[32:33], s[4:5], v[26:27]
	v_add_f64 v[18:19], v[38:39], v[18:19]
	v_add_f64 v[6:7], v[6:7], v[22:23]
	;; [unrolled: 1-line block ×3, first 2 shown]
	v_mul_f64 v[14:15], v[36:37], -0.5
	v_mul_f64 v[30:31], v[24:25], 0.5
	v_mul_f64 v[24:25], v[24:25], s[4:5]
	v_mul_f64 v[32:33], v[36:37], s[4:5]
	v_add_f64 v[8:9], v[8:9], v[16:17]
	v_fma_f64 v[16:17], v[28:29], s[4:5], v[2:3]
	v_fma_f64 v[20:21], v[28:29], s[10:11], v[2:3]
	;; [unrolled: 1-line block ×4, first 2 shown]
	v_add_f64 v[2:3], v[18:19], -v[6:7]
	v_add_f64 v[6:7], v[18:19], v[6:7]
	v_fma_f64 v[14:15], v[12:13], s[10:11], v[14:15]
	v_fma_f64 v[22:23], v[26:27], s[10:11], v[30:31]
	v_fma_f64 v[24:25], v[26:27], 0.5, v[24:25]
	v_fma_f64 v[26:27], v[12:13], -0.5, v[32:33]
	v_add_f64 v[0:1], v[8:9], -v[4:5]
	v_add_f64 v[4:5], v[8:9], v[4:5]
	v_add_f64 v[10:11], v[16:17], -v[14:15]
	v_add_f64 v[14:15], v[16:17], v[14:15]
	v_add_f64 v[18:19], v[20:21], v[22:23]
	;; [unrolled: 1-line block ×4, first 2 shown]
	v_add_f64 v[22:23], v[20:21], -v[22:23]
	v_add_f64 v[20:21], v[34:35], -v[24:25]
	;; [unrolled: 1-line block ×3, first 2 shown]
	v_and_b32_e32 v24, 0xffff, v53
	v_lshlrev_b32_e32 v25, 4, v57
	s_delay_alu instid0(VALU_DEP_2) | instskip(NEXT) | instid1(VALU_DEP_1)
	v_mul_u32_u24_e32 v24, 0x3c0, v24
	v_add3_u32 v24, 0, v24, v25
	ds_store_b128 v24, v[4:7]
	ds_store_b128 v24, v[16:19] offset:160
	ds_store_b128 v24, v[12:15] offset:320
	;; [unrolled: 1-line block ×5, first 2 shown]
.LBB0_23:
	s_or_b32 exec_lo, exec_lo, s1
	v_mul_u32_u24_e32 v0, 9, v52
	s_waitcnt lgkmcnt(0)
	s_barrier
	buffer_gl0_inv
	s_mov_b32 s1, 0x3fee6f0e
	v_lshlrev_b32_e32 v32, 4, v0
	s_mov_b32 s10, 0x4755a5e
	s_mov_b32 s11, 0xbfe2cf23
	;; [unrolled: 1-line block ×4, first 2 shown]
	s_clause 0x8
	global_load_b128 v[0:3], v32, s[8:9] offset:832
	global_load_b128 v[4:7], v32, s[8:9] offset:864
	;; [unrolled: 1-line block ×9, first 2 shown]
	ds_load_b128 v[36:39], v54 offset:2880
	ds_load_b128 v[40:43], v54 offset:4800
	;; [unrolled: 1-line block ×9, first 2 shown]
	s_mov_b32 s8, 0x134454ff
	s_mov_b32 s9, 0xbfee6f0e
	;; [unrolled: 1-line block ×11, first 2 shown]
	s_waitcnt vmcnt(8) lgkmcnt(8)
	v_mul_f64 v[79:80], v[38:39], v[2:3]
	v_mul_f64 v[2:3], v[36:37], v[2:3]
	s_waitcnt vmcnt(7) lgkmcnt(7)
	v_mul_f64 v[81:82], v[40:41], v[6:7]
	s_waitcnt vmcnt(6) lgkmcnt(6)
	;; [unrolled: 2-line block ×3, first 2 shown]
	v_mul_f64 v[85:86], v[55:56], v[14:15]
	v_mul_f64 v[6:7], v[42:43], v[6:7]
	;; [unrolled: 1-line block ×4, first 2 shown]
	v_fma_f64 v[36:37], v[36:37], v[0:1], v[79:80]
	v_fma_f64 v[38:39], v[38:39], v[0:1], -v[2:3]
	s_waitcnt vmcnt(4) lgkmcnt(4)
	v_mul_f64 v[0:1], v[59:60], v[18:19]
	v_fma_f64 v[42:43], v[42:43], v[4:5], -v[81:82]
	v_fma_f64 v[46:47], v[46:47], v[8:9], -v[83:84]
	;; [unrolled: 1-line block ×3, first 2 shown]
	s_waitcnt vmcnt(3) lgkmcnt(3)
	v_mul_f64 v[2:3], v[65:66], v[22:23]
	v_mul_f64 v[22:23], v[63:64], v[22:23]
	s_waitcnt vmcnt(2) lgkmcnt(2)
	v_mul_f64 v[79:80], v[69:70], v[26:27]
	v_fma_f64 v[4:5], v[40:41], v[4:5], v[6:7]
	v_mul_f64 v[6:7], v[67:68], v[26:27]
	s_waitcnt vmcnt(1) lgkmcnt(1)
	v_mul_f64 v[26:27], v[73:74], v[30:31]
	v_mul_f64 v[30:31], v[71:72], v[30:31]
	s_waitcnt vmcnt(0) lgkmcnt(0)
	v_mul_f64 v[40:41], v[77:78], v[34:35]
	v_fma_f64 v[8:9], v[44:45], v[8:9], v[10:11]
	v_mul_f64 v[10:11], v[75:76], v[34:35]
	v_mul_f64 v[18:19], v[61:62], v[18:19]
	v_fma_f64 v[12:13], v[55:56], v[12:13], v[14:15]
	v_fma_f64 v[14:15], v[61:62], v[16:17], -v[0:1]
	v_add_f64 v[0:1], v[42:43], v[46:47]
	v_add_f64 v[34:35], v[38:39], v[57:58]
	v_fma_f64 v[44:45], v[63:64], v[20:21], v[2:3]
	v_fma_f64 v[20:21], v[65:66], v[20:21], -v[22:23]
	v_fma_f64 v[22:23], v[67:68], v[24:25], v[79:80]
	v_add_f64 v[67:68], v[38:39], -v[57:58]
	v_fma_f64 v[6:7], v[69:70], v[24:25], -v[6:7]
	v_fma_f64 v[24:25], v[71:72], v[28:29], v[26:27]
	v_fma_f64 v[28:29], v[73:74], v[28:29], -v[30:31]
	v_fma_f64 v[26:27], v[75:76], v[32:33], v[40:41]
	v_add_f64 v[40:41], v[4:5], -v[8:9]
	v_fma_f64 v[10:11], v[77:78], v[32:33], -v[10:11]
	v_fma_f64 v[16:17], v[59:60], v[16:17], v[18:19]
	v_add_f64 v[18:19], v[4:5], v[8:9]
	v_add_f64 v[30:31], v[36:37], v[12:13]
	v_add_f64 v[32:33], v[36:37], -v[12:13]
	v_add_f64 v[69:70], v[42:43], -v[46:47]
	;; [unrolled: 1-line block ×8, first 2 shown]
	v_fma_f64 v[55:56], v[0:1], -0.5, v[14:15]
	v_fma_f64 v[34:35], v[34:35], -0.5, v[14:15]
	ds_load_b128 v[0:3], v54
	v_add_f64 v[14:15], v[14:15], v[38:39]
	v_add_f64 v[38:39], v[8:9], -v[12:13]
	s_waitcnt lgkmcnt(0)
	s_barrier
	v_add_f64 v[59:60], v[22:23], v[24:25]
	v_add_f64 v[63:64], v[6:7], v[28:29]
	v_add_f64 v[61:62], v[44:45], v[26:27]
	v_add_f64 v[87:88], v[6:7], -v[28:29]
	v_add_f64 v[65:66], v[20:21], v[10:11]
	v_add_f64 v[85:86], v[20:21], -v[10:11]
	v_fma_f64 v[18:19], v[18:19], -0.5, v[16:17]
	v_fma_f64 v[30:31], v[30:31], -0.5, v[16:17]
	v_add_f64 v[16:17], v[16:17], v[36:37]
	v_add_f64 v[36:37], v[4:5], -v[36:37]
	buffer_gl0_inv
	v_add_f64 v[71:72], v[71:72], v[73:74]
	v_add_f64 v[73:74], v[75:76], v[77:78]
	v_add_f64 v[77:78], v[22:23], -v[24:25]
	v_add_f64 v[83:84], v[0:1], v[44:45]
	v_add_f64 v[89:90], v[2:3], v[20:21]
	v_add_f64 v[91:92], v[91:92], v[93:94]
	v_add_f64 v[93:94], v[28:29], -v[10:11]
	v_fma_f64 v[79:80], v[32:33], s[0:1], v[55:56]
	v_fma_f64 v[81:82], v[40:41], s[8:9], v[34:35]
	;; [unrolled: 1-line block ×4, first 2 shown]
	v_add_f64 v[14:15], v[14:15], v[42:43]
	v_fma_f64 v[59:60], v[59:60], -0.5, v[0:1]
	v_fma_f64 v[0:1], v[61:62], -0.5, v[0:1]
	v_fma_f64 v[61:62], v[63:64], -0.5, v[2:3]
	v_fma_f64 v[2:3], v[65:66], -0.5, v[2:3]
	v_add_f64 v[63:64], v[44:45], -v[26:27]
	v_fma_f64 v[65:66], v[67:68], s[8:9], v[18:19]
	v_fma_f64 v[18:19], v[67:68], s[0:1], v[18:19]
	;; [unrolled: 1-line block ×4, first 2 shown]
	v_add_f64 v[4:5], v[16:17], v[4:5]
	v_add_f64 v[16:17], v[10:11], -v[28:29]
	v_add_f64 v[36:37], v[36:37], v[38:39]
	v_fma_f64 v[79:80], v[40:41], s[4:5], v[79:80]
	v_fma_f64 v[81:82], v[32:33], s[4:5], v[81:82]
	;; [unrolled: 1-line block ×4, first 2 shown]
	v_add_f64 v[40:41], v[44:45], -v[22:23]
	v_add_f64 v[44:45], v[22:23], -v[44:45]
	v_add_f64 v[22:23], v[83:84], v[22:23]
	v_add_f64 v[83:84], v[20:21], -v[6:7]
	v_add_f64 v[20:21], v[6:7], -v[20:21]
	v_add_f64 v[6:7], v[89:90], v[6:7]
	v_add_f64 v[55:56], v[26:27], -v[24:25]
	v_fma_f64 v[38:39], v[85:86], s[8:9], v[59:60]
	v_fma_f64 v[42:43], v[85:86], s[0:1], v[59:60]
	;; [unrolled: 1-line block ×9, first 2 shown]
	v_add_f64 v[89:90], v[24:25], -v[26:27]
	v_fma_f64 v[61:62], v[63:64], s[8:9], v[61:62]
	v_fma_f64 v[0:1], v[87:88], s[8:9], v[0:1]
	;; [unrolled: 1-line block ×3, first 2 shown]
	v_add_f64 v[4:5], v[4:5], v[8:9]
	v_add_f64 v[8:9], v[14:15], v[46:47]
	v_fma_f64 v[79:80], v[71:72], s[12:13], v[79:80]
	v_fma_f64 v[81:82], v[73:74], s[12:13], v[81:82]
	;; [unrolled: 1-line block ×4, first 2 shown]
	v_add_f64 v[22:23], v[22:23], v[24:25]
	v_add_f64 v[16:17], v[83:84], v[16:17]
	;; [unrolled: 1-line block ×5, first 2 shown]
	v_fma_f64 v[14:15], v[87:88], s[10:11], v[38:39]
	v_fma_f64 v[24:25], v[87:88], s[4:5], v[42:43]
	;; [unrolled: 1-line block ×9, first 2 shown]
	v_add_f64 v[44:45], v[44:45], v[89:90]
	v_fma_f64 v[42:43], v[77:78], s[10:11], v[61:62]
	v_fma_f64 v[0:1], v[85:86], s[4:5], v[0:1]
	;; [unrolled: 1-line block ×3, first 2 shown]
	v_add_f64 v[4:5], v[4:5], v[12:13]
	v_add_f64 v[8:9], v[8:9], v[57:58]
	v_mul_f64 v[36:37], v[79:80], s[10:11]
	v_mul_f64 v[67:68], v[79:80], s[14:15]
	;; [unrolled: 1-line block ×8, first 2 shown]
	v_add_f64 v[22:23], v[22:23], v[26:27]
	v_add_f64 v[6:7], v[6:7], v[10:11]
	v_fma_f64 v[26:27], v[40:41], s[12:13], v[14:15]
	v_fma_f64 v[40:41], v[40:41], s[12:13], v[24:25]
	;; [unrolled: 1-line block ×16, first 2 shown]
	v_add_f64 v[0:1], v[22:23], v[4:5]
	v_add_f64 v[2:3], v[6:7], v[8:9]
	v_add_f64 v[6:7], v[6:7], -v[8:9]
	v_add_f64 v[4:5], v[22:23], -v[4:5]
	v_add_f64 v[8:9], v[26:27], v[24:25]
	v_add_f64 v[10:11], v[38:39], v[55:56]
	;; [unrolled: 1-line block ×8, first 2 shown]
	v_add_f64 v[24:25], v[26:27], -v[24:25]
	v_add_f64 v[26:27], v[38:39], -v[55:56]
	;; [unrolled: 1-line block ×8, first 2 shown]
	ds_store_b128 v54, v[0:3]
	ds_store_b128 v54, v[8:11] offset:960
	ds_store_b128 v54, v[12:15] offset:1920
	;; [unrolled: 1-line block ×9, first 2 shown]
	s_waitcnt lgkmcnt(0)
	s_barrier
	buffer_gl0_inv
	s_and_saveexec_b32 s0, vcc_lo
	s_cbranch_execz .LBB0_25
; %bb.24:
	v_mul_lo_u32 v2, s3, v50
	v_mul_lo_u32 v3, s2, v51
	v_mad_u64_u32 v[0:1], null, s2, v50, 0
	v_dual_mov_b32 v53, 0 :: v_dual_add_nc_u32 v10, 60, v52
	v_lshlrev_b64 v[8:9], 4, v[48:49]
	v_lshl_add_u32 v34, v52, 4, 0
	s_delay_alu instid0(VALU_DEP_3) | instskip(SKIP_4) | instid1(VALU_DEP_4)
	v_dual_mov_b32 v11, v53 :: v_dual_add_nc_u32 v12, 0x78, v52
	v_add3_u32 v1, v1, v3, v2
	v_lshlrev_b64 v[14:15], 4, v[52:53]
	v_dual_mov_b32 v13, v53 :: v_dual_add_nc_u32 v22, 0xb4, v52
	v_dual_mov_b32 v23, v53 :: v_dual_add_nc_u32 v24, 0xf0, v52
	v_lshlrev_b64 v[16:17], 4, v[0:1]
	ds_load_b128 v[0:3], v34
	ds_load_b128 v[4:7], v34 offset:960
	v_mov_b32_e32 v25, v53
	v_lshlrev_b64 v[22:23], 4, v[22:23]
	v_add_co_u32 v18, vcc_lo, s6, v16
	v_add_co_ci_u32_e32 v19, vcc_lo, s7, v17, vcc_lo
	v_lshlrev_b64 v[16:17], 4, v[10:11]
	s_delay_alu instid0(VALU_DEP_3) | instskip(NEXT) | instid1(VALU_DEP_3)
	v_add_co_u32 v36, vcc_lo, v18, v8
	v_add_co_ci_u32_e32 v37, vcc_lo, v19, v9, vcc_lo
	v_lshlrev_b64 v[18:19], 4, v[12:13]
	s_delay_alu instid0(VALU_DEP_3) | instskip(NEXT) | instid1(VALU_DEP_3)
	v_add_co_u32 v20, vcc_lo, v36, v14
	v_add_co_ci_u32_e32 v21, vcc_lo, v37, v15, vcc_lo
	ds_load_b128 v[8:11], v34 offset:1920
	ds_load_b128 v[12:15], v34 offset:2880
	v_add_co_u32 v16, vcc_lo, v36, v16
	v_add_co_ci_u32_e32 v17, vcc_lo, v37, v17, vcc_lo
	v_add_co_u32 v18, vcc_lo, v36, v18
	v_add_co_ci_u32_e32 v19, vcc_lo, v37, v19, vcc_lo
	v_add_co_u32 v22, vcc_lo, v36, v22
	s_waitcnt lgkmcnt(3)
	global_store_b128 v[20:21], v[0:3], off
	s_waitcnt lgkmcnt(2)
	global_store_b128 v[16:17], v[4:7], off
	v_dual_mov_b32 v3, v53 :: v_dual_add_nc_u32 v2, 0x12c, v52
	v_add_co_ci_u32_e32 v23, vcc_lo, v37, v23, vcc_lo
	v_lshlrev_b64 v[0:1], 4, v[24:25]
	s_waitcnt lgkmcnt(1)
	global_store_b128 v[18:19], v[8:11], off
	s_waitcnt lgkmcnt(0)
	global_store_b128 v[22:23], v[12:15], off
	v_add_nc_u32_e32 v10, 0x168, v52
	v_lshlrev_b64 v[8:9], 4, v[2:3]
	v_add_co_u32 v24, vcc_lo, v36, v0
	v_dual_mov_b32 v11, v53 :: v_dual_add_nc_u32 v16, 0x1a4, v52
	v_add_co_ci_u32_e32 v25, vcc_lo, v37, v1, vcc_lo
	s_delay_alu instid0(VALU_DEP_4) | instskip(SKIP_1) | instid1(VALU_DEP_4)
	v_add_co_u32 v26, vcc_lo, v36, v8
	v_add_co_ci_u32_e32 v27, vcc_lo, v37, v9, vcc_lo
	v_lshlrev_b64 v[8:9], 4, v[10:11]
	v_dual_mov_b32 v17, v53 :: v_dual_add_nc_u32 v18, 0x1e0, v52
	v_dual_mov_b32 v19, v53 :: v_dual_add_nc_u32 v52, 0x21c, v52
	ds_load_b128 v[0:3], v34 offset:3840
	ds_load_b128 v[4:7], v34 offset:4800
	v_add_co_u32 v28, vcc_lo, v36, v8
	v_add_co_ci_u32_e32 v29, vcc_lo, v37, v9, vcc_lo
	ds_load_b128 v[8:11], v34 offset:5760
	ds_load_b128 v[12:15], v34 offset:6720
	v_lshlrev_b64 v[30:31], 4, v[16:17]
	v_lshlrev_b64 v[32:33], 4, v[18:19]
	ds_load_b128 v[16:19], v34 offset:7680
	ds_load_b128 v[20:23], v34 offset:8640
	v_lshlrev_b64 v[34:35], 4, v[52:53]
	v_add_co_u32 v30, vcc_lo, v36, v30
	v_add_co_ci_u32_e32 v31, vcc_lo, v37, v31, vcc_lo
	v_add_co_u32 v32, vcc_lo, v36, v32
	v_add_co_ci_u32_e32 v33, vcc_lo, v37, v33, vcc_lo
	;; [unrolled: 2-line block ×3, first 2 shown]
	s_waitcnt lgkmcnt(5)
	global_store_b128 v[24:25], v[0:3], off
	s_waitcnt lgkmcnt(4)
	global_store_b128 v[26:27], v[4:7], off
	;; [unrolled: 2-line block ×6, first 2 shown]
.LBB0_25:
	s_nop 0
	s_sendmsg sendmsg(MSG_DEALLOC_VGPRS)
	s_endpgm
	.section	.rodata,"a",@progbits
	.p2align	6, 0x0
	.amdhsa_kernel fft_rtc_back_len600_factors_10_6_10_wgs_60_tpt_60_halfLds_dp_op_CI_CI_unitstride_sbrr_C2R_dirReg
		.amdhsa_group_segment_fixed_size 0
		.amdhsa_private_segment_fixed_size 0
		.amdhsa_kernarg_size 104
		.amdhsa_user_sgpr_count 15
		.amdhsa_user_sgpr_dispatch_ptr 0
		.amdhsa_user_sgpr_queue_ptr 0
		.amdhsa_user_sgpr_kernarg_segment_ptr 1
		.amdhsa_user_sgpr_dispatch_id 0
		.amdhsa_user_sgpr_private_segment_size 0
		.amdhsa_wavefront_size32 1
		.amdhsa_uses_dynamic_stack 0
		.amdhsa_enable_private_segment 0
		.amdhsa_system_sgpr_workgroup_id_x 1
		.amdhsa_system_sgpr_workgroup_id_y 0
		.amdhsa_system_sgpr_workgroup_id_z 0
		.amdhsa_system_sgpr_workgroup_info 0
		.amdhsa_system_vgpr_workitem_id 0
		.amdhsa_next_free_vgpr 95
		.amdhsa_next_free_sgpr 27
		.amdhsa_reserve_vcc 1
		.amdhsa_float_round_mode_32 0
		.amdhsa_float_round_mode_16_64 0
		.amdhsa_float_denorm_mode_32 3
		.amdhsa_float_denorm_mode_16_64 3
		.amdhsa_dx10_clamp 1
		.amdhsa_ieee_mode 1
		.amdhsa_fp16_overflow 0
		.amdhsa_workgroup_processor_mode 1
		.amdhsa_memory_ordered 1
		.amdhsa_forward_progress 0
		.amdhsa_shared_vgpr_count 0
		.amdhsa_exception_fp_ieee_invalid_op 0
		.amdhsa_exception_fp_denorm_src 0
		.amdhsa_exception_fp_ieee_div_zero 0
		.amdhsa_exception_fp_ieee_overflow 0
		.amdhsa_exception_fp_ieee_underflow 0
		.amdhsa_exception_fp_ieee_inexact 0
		.amdhsa_exception_int_div_zero 0
	.end_amdhsa_kernel
	.text
.Lfunc_end0:
	.size	fft_rtc_back_len600_factors_10_6_10_wgs_60_tpt_60_halfLds_dp_op_CI_CI_unitstride_sbrr_C2R_dirReg, .Lfunc_end0-fft_rtc_back_len600_factors_10_6_10_wgs_60_tpt_60_halfLds_dp_op_CI_CI_unitstride_sbrr_C2R_dirReg
                                        ; -- End function
	.section	.AMDGPU.csdata,"",@progbits
; Kernel info:
; codeLenInByte = 8644
; NumSgprs: 29
; NumVgprs: 95
; ScratchSize: 0
; MemoryBound: 0
; FloatMode: 240
; IeeeMode: 1
; LDSByteSize: 0 bytes/workgroup (compile time only)
; SGPRBlocks: 3
; VGPRBlocks: 11
; NumSGPRsForWavesPerEU: 29
; NumVGPRsForWavesPerEU: 95
; Occupancy: 16
; WaveLimiterHint : 1
; COMPUTE_PGM_RSRC2:SCRATCH_EN: 0
; COMPUTE_PGM_RSRC2:USER_SGPR: 15
; COMPUTE_PGM_RSRC2:TRAP_HANDLER: 0
; COMPUTE_PGM_RSRC2:TGID_X_EN: 1
; COMPUTE_PGM_RSRC2:TGID_Y_EN: 0
; COMPUTE_PGM_RSRC2:TGID_Z_EN: 0
; COMPUTE_PGM_RSRC2:TIDIG_COMP_CNT: 0
	.text
	.p2alignl 7, 3214868480
	.fill 96, 4, 3214868480
	.type	__hip_cuid_f432a13eca22834f,@object ; @__hip_cuid_f432a13eca22834f
	.section	.bss,"aw",@nobits
	.globl	__hip_cuid_f432a13eca22834f
__hip_cuid_f432a13eca22834f:
	.byte	0                               ; 0x0
	.size	__hip_cuid_f432a13eca22834f, 1

	.ident	"AMD clang version 19.0.0git (https://github.com/RadeonOpenCompute/llvm-project roc-6.4.0 25133 c7fe45cf4b819c5991fe208aaa96edf142730f1d)"
	.section	".note.GNU-stack","",@progbits
	.addrsig
	.addrsig_sym __hip_cuid_f432a13eca22834f
	.amdgpu_metadata
---
amdhsa.kernels:
  - .args:
      - .actual_access:  read_only
        .address_space:  global
        .offset:         0
        .size:           8
        .value_kind:     global_buffer
      - .offset:         8
        .size:           8
        .value_kind:     by_value
      - .actual_access:  read_only
        .address_space:  global
        .offset:         16
        .size:           8
        .value_kind:     global_buffer
      - .actual_access:  read_only
        .address_space:  global
        .offset:         24
        .size:           8
        .value_kind:     global_buffer
      - .actual_access:  read_only
        .address_space:  global
        .offset:         32
        .size:           8
        .value_kind:     global_buffer
      - .offset:         40
        .size:           8
        .value_kind:     by_value
      - .actual_access:  read_only
        .address_space:  global
        .offset:         48
        .size:           8
        .value_kind:     global_buffer
      - .actual_access:  read_only
        .address_space:  global
        .offset:         56
        .size:           8
        .value_kind:     global_buffer
      - .offset:         64
        .size:           4
        .value_kind:     by_value
      - .actual_access:  read_only
        .address_space:  global
        .offset:         72
        .size:           8
        .value_kind:     global_buffer
      - .actual_access:  read_only
        .address_space:  global
        .offset:         80
        .size:           8
        .value_kind:     global_buffer
      - .actual_access:  read_only
        .address_space:  global
        .offset:         88
        .size:           8
        .value_kind:     global_buffer
      - .actual_access:  write_only
        .address_space:  global
        .offset:         96
        .size:           8
        .value_kind:     global_buffer
    .group_segment_fixed_size: 0
    .kernarg_segment_align: 8
    .kernarg_segment_size: 104
    .language:       OpenCL C
    .language_version:
      - 2
      - 0
    .max_flat_workgroup_size: 60
    .name:           fft_rtc_back_len600_factors_10_6_10_wgs_60_tpt_60_halfLds_dp_op_CI_CI_unitstride_sbrr_C2R_dirReg
    .private_segment_fixed_size: 0
    .sgpr_count:     29
    .sgpr_spill_count: 0
    .symbol:         fft_rtc_back_len600_factors_10_6_10_wgs_60_tpt_60_halfLds_dp_op_CI_CI_unitstride_sbrr_C2R_dirReg.kd
    .uniform_work_group_size: 1
    .uses_dynamic_stack: false
    .vgpr_count:     95
    .vgpr_spill_count: 0
    .wavefront_size: 32
    .workgroup_processor_mode: 1
amdhsa.target:   amdgcn-amd-amdhsa--gfx1100
amdhsa.version:
  - 1
  - 2
...

	.end_amdgpu_metadata
